;; amdgpu-corpus repo=ROCm/rocFFT kind=compiled arch=gfx906 opt=O3
	.text
	.amdgcn_target "amdgcn-amd-amdhsa--gfx906"
	.amdhsa_code_object_version 6
	.protected	fft_rtc_back_len1760_factors_2_2_2_2_2_11_5_wgs_176_tpt_176_halfLds_dp_op_CI_CI_unitstride_sbrr_dirReg ; -- Begin function fft_rtc_back_len1760_factors_2_2_2_2_2_11_5_wgs_176_tpt_176_halfLds_dp_op_CI_CI_unitstride_sbrr_dirReg
	.globl	fft_rtc_back_len1760_factors_2_2_2_2_2_11_5_wgs_176_tpt_176_halfLds_dp_op_CI_CI_unitstride_sbrr_dirReg
	.p2align	8
	.type	fft_rtc_back_len1760_factors_2_2_2_2_2_11_5_wgs_176_tpt_176_halfLds_dp_op_CI_CI_unitstride_sbrr_dirReg,@function
fft_rtc_back_len1760_factors_2_2_2_2_2_11_5_wgs_176_tpt_176_halfLds_dp_op_CI_CI_unitstride_sbrr_dirReg: ; @fft_rtc_back_len1760_factors_2_2_2_2_2_11_5_wgs_176_tpt_176_halfLds_dp_op_CI_CI_unitstride_sbrr_dirReg
; %bb.0:
	s_load_dwordx4 s[8:11], s[4:5], 0x58
	s_load_dwordx4 s[12:15], s[4:5], 0x0
	;; [unrolled: 1-line block ×3, first 2 shown]
	v_mul_u32_u24_e32 v1, 0x175, v0
	v_add_u32_sdwa v6, s6, v1 dst_sel:DWORD dst_unused:UNUSED_PAD src0_sel:DWORD src1_sel:WORD_1
	v_mov_b32_e32 v1, 0
	s_waitcnt lgkmcnt(0)
	v_cmp_lt_u64_e64 s[0:1], s[14:15], 2
	v_mov_b32_e32 v4, 0
	v_mov_b32_e32 v7, v1
	s_and_b64 vcc, exec, s[0:1]
	v_mov_b32_e32 v5, 0
	s_cbranch_vccnz .LBB0_8
; %bb.1:
	s_load_dwordx2 s[0:1], s[4:5], 0x10
	s_add_u32 s2, s18, 8
	s_addc_u32 s3, s19, 0
	s_add_u32 s6, s16, 8
	v_mov_b32_e32 v4, 0
	s_addc_u32 s7, s17, 0
	v_mov_b32_e32 v5, 0
	s_waitcnt lgkmcnt(0)
	s_add_u32 s20, s0, 8
	v_mov_b32_e32 v57, v5
	s_addc_u32 s21, s1, 0
	s_mov_b64 s[22:23], 1
	v_mov_b32_e32 v56, v4
.LBB0_2:                                ; =>This Inner Loop Header: Depth=1
	s_load_dwordx2 s[24:25], s[20:21], 0x0
                                        ; implicit-def: $vgpr58_vgpr59
	s_waitcnt lgkmcnt(0)
	v_or_b32_e32 v2, s25, v7
	v_cmp_ne_u64_e32 vcc, 0, v[1:2]
	s_and_saveexec_b64 s[0:1], vcc
	s_xor_b64 s[26:27], exec, s[0:1]
	s_cbranch_execz .LBB0_4
; %bb.3:                                ;   in Loop: Header=BB0_2 Depth=1
	v_cvt_f32_u32_e32 v2, s24
	v_cvt_f32_u32_e32 v3, s25
	s_sub_u32 s0, 0, s24
	s_subb_u32 s1, 0, s25
	v_mac_f32_e32 v2, 0x4f800000, v3
	v_rcp_f32_e32 v2, v2
	v_mul_f32_e32 v2, 0x5f7ffffc, v2
	v_mul_f32_e32 v3, 0x2f800000, v2
	v_trunc_f32_e32 v3, v3
	v_mac_f32_e32 v2, 0xcf800000, v3
	v_cvt_u32_f32_e32 v3, v3
	v_cvt_u32_f32_e32 v2, v2
	v_mul_lo_u32 v8, s0, v3
	v_mul_hi_u32 v9, s0, v2
	v_mul_lo_u32 v11, s1, v2
	v_mul_lo_u32 v10, s0, v2
	v_add_u32_e32 v8, v9, v8
	v_add_u32_e32 v8, v8, v11
	v_mul_hi_u32 v9, v2, v10
	v_mul_lo_u32 v11, v2, v8
	v_mul_hi_u32 v13, v2, v8
	v_mul_hi_u32 v12, v3, v10
	v_mul_lo_u32 v10, v3, v10
	v_mul_hi_u32 v14, v3, v8
	v_add_co_u32_e32 v9, vcc, v9, v11
	v_addc_co_u32_e32 v11, vcc, 0, v13, vcc
	v_mul_lo_u32 v8, v3, v8
	v_add_co_u32_e32 v9, vcc, v9, v10
	v_addc_co_u32_e32 v9, vcc, v11, v12, vcc
	v_addc_co_u32_e32 v10, vcc, 0, v14, vcc
	v_add_co_u32_e32 v8, vcc, v9, v8
	v_addc_co_u32_e32 v9, vcc, 0, v10, vcc
	v_add_co_u32_e32 v2, vcc, v2, v8
	v_addc_co_u32_e32 v3, vcc, v3, v9, vcc
	v_mul_lo_u32 v8, s0, v3
	v_mul_hi_u32 v9, s0, v2
	v_mul_lo_u32 v10, s1, v2
	v_mul_lo_u32 v11, s0, v2
	v_add_u32_e32 v8, v9, v8
	v_add_u32_e32 v8, v8, v10
	v_mul_lo_u32 v12, v2, v8
	v_mul_hi_u32 v13, v2, v11
	v_mul_hi_u32 v14, v2, v8
	v_mul_hi_u32 v10, v3, v11
	v_mul_lo_u32 v11, v3, v11
	v_mul_hi_u32 v9, v3, v8
	v_add_co_u32_e32 v12, vcc, v13, v12
	v_addc_co_u32_e32 v13, vcc, 0, v14, vcc
	v_mul_lo_u32 v8, v3, v8
	v_add_co_u32_e32 v11, vcc, v12, v11
	v_addc_co_u32_e32 v10, vcc, v13, v10, vcc
	v_addc_co_u32_e32 v9, vcc, 0, v9, vcc
	v_add_co_u32_e32 v8, vcc, v10, v8
	v_addc_co_u32_e32 v9, vcc, 0, v9, vcc
	v_add_co_u32_e32 v8, vcc, v2, v8
	v_addc_co_u32_e32 v9, vcc, v3, v9, vcc
	v_mad_u64_u32 v[2:3], s[0:1], v6, v9, 0
	v_mul_hi_u32 v10, v6, v8
	v_add_co_u32_e32 v10, vcc, v10, v2
	v_addc_co_u32_e32 v11, vcc, 0, v3, vcc
	v_mad_u64_u32 v[2:3], s[0:1], v7, v8, 0
	v_mad_u64_u32 v[8:9], s[0:1], v7, v9, 0
	v_add_co_u32_e32 v2, vcc, v10, v2
	v_addc_co_u32_e32 v2, vcc, v11, v3, vcc
	v_addc_co_u32_e32 v3, vcc, 0, v9, vcc
	v_add_co_u32_e32 v8, vcc, v2, v8
	v_addc_co_u32_e32 v9, vcc, 0, v3, vcc
	v_mul_lo_u32 v10, s25, v8
	v_mul_lo_u32 v11, s24, v9
	v_mad_u64_u32 v[2:3], s[0:1], s24, v8, 0
	v_add3_u32 v3, v3, v11, v10
	v_sub_u32_e32 v10, v7, v3
	v_mov_b32_e32 v11, s25
	v_sub_co_u32_e32 v2, vcc, v6, v2
	v_subb_co_u32_e64 v10, s[0:1], v10, v11, vcc
	v_subrev_co_u32_e64 v11, s[0:1], s24, v2
	v_subbrev_co_u32_e64 v10, s[0:1], 0, v10, s[0:1]
	v_cmp_le_u32_e64 s[0:1], s25, v10
	v_cndmask_b32_e64 v12, 0, -1, s[0:1]
	v_cmp_le_u32_e64 s[0:1], s24, v11
	v_cndmask_b32_e64 v11, 0, -1, s[0:1]
	v_cmp_eq_u32_e64 s[0:1], s25, v10
	v_cndmask_b32_e64 v10, v12, v11, s[0:1]
	v_add_co_u32_e64 v11, s[0:1], 2, v8
	v_addc_co_u32_e64 v12, s[0:1], 0, v9, s[0:1]
	v_add_co_u32_e64 v13, s[0:1], 1, v8
	v_addc_co_u32_e64 v14, s[0:1], 0, v9, s[0:1]
	v_subb_co_u32_e32 v3, vcc, v7, v3, vcc
	v_cmp_ne_u32_e64 s[0:1], 0, v10
	v_cmp_le_u32_e32 vcc, s25, v3
	v_cndmask_b32_e64 v10, v14, v12, s[0:1]
	v_cndmask_b32_e64 v12, 0, -1, vcc
	v_cmp_le_u32_e32 vcc, s24, v2
	v_cndmask_b32_e64 v2, 0, -1, vcc
	v_cmp_eq_u32_e32 vcc, s25, v3
	v_cndmask_b32_e32 v2, v12, v2, vcc
	v_cmp_ne_u32_e32 vcc, 0, v2
	v_cndmask_b32_e64 v2, v13, v11, s[0:1]
	v_cndmask_b32_e32 v59, v9, v10, vcc
	v_cndmask_b32_e32 v58, v8, v2, vcc
.LBB0_4:                                ;   in Loop: Header=BB0_2 Depth=1
	s_andn2_saveexec_b64 s[0:1], s[26:27]
	s_cbranch_execz .LBB0_6
; %bb.5:                                ;   in Loop: Header=BB0_2 Depth=1
	v_cvt_f32_u32_e32 v2, s24
	s_sub_i32 s26, 0, s24
	v_mov_b32_e32 v59, v1
	v_rcp_iflag_f32_e32 v2, v2
	v_mul_f32_e32 v2, 0x4f7ffffe, v2
	v_cvt_u32_f32_e32 v2, v2
	v_mul_lo_u32 v3, s26, v2
	v_mul_hi_u32 v3, v2, v3
	v_add_u32_e32 v2, v2, v3
	v_mul_hi_u32 v2, v6, v2
	v_mul_lo_u32 v3, v2, s24
	v_add_u32_e32 v8, 1, v2
	v_sub_u32_e32 v3, v6, v3
	v_subrev_u32_e32 v9, s24, v3
	v_cmp_le_u32_e32 vcc, s24, v3
	v_cndmask_b32_e32 v3, v3, v9, vcc
	v_cndmask_b32_e32 v2, v2, v8, vcc
	v_add_u32_e32 v8, 1, v2
	v_cmp_le_u32_e32 vcc, s24, v3
	v_cndmask_b32_e32 v58, v2, v8, vcc
.LBB0_6:                                ;   in Loop: Header=BB0_2 Depth=1
	s_or_b64 exec, exec, s[0:1]
	v_mul_lo_u32 v8, v59, s24
	v_mul_lo_u32 v9, v58, s25
	v_mad_u64_u32 v[2:3], s[0:1], v58, s24, 0
	s_load_dwordx2 s[0:1], s[6:7], 0x0
	s_load_dwordx2 s[24:25], s[2:3], 0x0
	v_add3_u32 v3, v3, v9, v8
	v_sub_co_u32_e32 v2, vcc, v6, v2
	v_subb_co_u32_e32 v3, vcc, v7, v3, vcc
	s_waitcnt lgkmcnt(0)
	v_mul_lo_u32 v6, s0, v3
	v_mul_lo_u32 v7, s1, v2
	v_mad_u64_u32 v[4:5], s[0:1], s0, v2, v[4:5]
	v_mul_lo_u32 v3, s24, v3
	v_mul_lo_u32 v8, s25, v2
	v_mad_u64_u32 v[56:57], s[0:1], s24, v2, v[56:57]
	s_add_u32 s22, s22, 1
	s_addc_u32 s23, s23, 0
	s_add_u32 s2, s2, 8
	v_add3_u32 v57, v8, v57, v3
	s_addc_u32 s3, s3, 0
	v_mov_b32_e32 v2, s14
	s_add_u32 s6, s6, 8
	v_mov_b32_e32 v3, s15
	s_addc_u32 s7, s7, 0
	v_cmp_ge_u64_e32 vcc, s[22:23], v[2:3]
	s_add_u32 s20, s20, 8
	v_add3_u32 v5, v7, v5, v6
	s_addc_u32 s21, s21, 0
	s_cbranch_vccnz .LBB0_9
; %bb.7:                                ;   in Loop: Header=BB0_2 Depth=1
	v_mov_b32_e32 v6, v58
	v_mov_b32_e32 v7, v59
	s_branch .LBB0_2
.LBB0_8:
	v_mov_b32_e32 v57, v5
	v_mov_b32_e32 v59, v7
	;; [unrolled: 1-line block ×4, first 2 shown]
.LBB0_9:
	s_load_dwordx2 s[4:5], s[4:5], 0x28
	s_lshl_b64 s[6:7], s[14:15], 3
	s_add_u32 s2, s18, s6
	s_addc_u32 s3, s19, s7
                                        ; implicit-def: $vgpr68
	s_waitcnt lgkmcnt(0)
	v_cmp_gt_u64_e64 s[0:1], s[4:5], v[58:59]
	v_cmp_le_u64_e32 vcc, s[4:5], v[58:59]
	s_and_saveexec_b64 s[4:5], vcc
	s_xor_b64 s[4:5], exec, s[4:5]
; %bb.10:
	s_mov_b32 s14, 0x1745d18
	v_mul_hi_u32 v1, v0, s14
                                        ; implicit-def: $vgpr4_vgpr5
	v_mul_u32_u24_e32 v1, 0xb0, v1
	v_sub_u32_e32 v68, v0, v1
                                        ; implicit-def: $vgpr0
; %bb.11:
	s_or_saveexec_b64 s[4:5], s[4:5]
                                        ; implicit-def: $vgpr18_vgpr19
                                        ; implicit-def: $vgpr2_vgpr3
                                        ; implicit-def: $vgpr22_vgpr23
                                        ; implicit-def: $vgpr10_vgpr11
                                        ; implicit-def: $vgpr26_vgpr27
                                        ; implicit-def: $vgpr14_vgpr15
                                        ; implicit-def: $vgpr30_vgpr31
                                        ; implicit-def: $vgpr6_vgpr7
                                        ; implicit-def: $vgpr38_vgpr39
                                        ; implicit-def: $vgpr34_vgpr35
	s_xor_b64 exec, exec, s[4:5]
	s_cbranch_execz .LBB0_13
; %bb.12:
	s_add_u32 s6, s16, s6
	s_addc_u32 s7, s17, s7
	s_load_dwordx2 s[6:7], s[6:7], 0x0
	s_mov_b32 s14, 0x1745d18
	v_mul_hi_u32 v3, v0, s14
	s_waitcnt lgkmcnt(0)
	v_mul_lo_u32 v6, s7, v58
	v_mul_lo_u32 v7, s6, v59
	v_mad_u64_u32 v[1:2], s[6:7], s6, v58, 0
	v_mul_u32_u24_e32 v3, 0xb0, v3
	v_sub_u32_e32 v68, v0, v3
	v_add3_u32 v2, v2, v7, v6
	v_lshlrev_b64 v[0:1], 4, v[1:2]
	v_mov_b32_e32 v2, s9
	v_add_co_u32_e32 v3, vcc, s8, v0
	v_addc_co_u32_e32 v2, vcc, v2, v1, vcc
	v_lshlrev_b64 v[0:1], 4, v[4:5]
	s_movk_i32 s6, 0x3000
	v_add_co_u32_e32 v0, vcc, v3, v0
	v_addc_co_u32_e32 v1, vcc, v2, v1, vcc
	v_lshlrev_b32_e32 v2, 4, v68
	v_add_co_u32_e32 v40, vcc, v0, v2
	v_addc_co_u32_e32 v41, vcc, 0, v1, vcc
	v_add_co_u32_e32 v42, vcc, s6, v40
	v_addc_co_u32_e32 v43, vcc, 0, v41, vcc
	s_movk_i32 s6, 0x4000
	v_add_co_u32_e32 v44, vcc, s6, v40
	v_addc_co_u32_e32 v45, vcc, 0, v41, vcc
	s_movk_i32 s6, 0x1000
	;; [unrolled: 3-line block ×4, first 2 shown]
	v_add_co_u32_e32 v50, vcc, s6, v40
	v_addc_co_u32_e32 v51, vcc, 0, v41, vcc
	v_add_co_u32_e32 v52, vcc, 0x6000, v40
	v_addc_co_u32_e32 v53, vcc, 0, v41, vcc
	global_load_dwordx4 v[32:35], v[40:41], off
	global_load_dwordx4 v[4:7], v[40:41], off offset:2816
	global_load_dwordx4 v[36:39], v[42:43], off offset:1792
	global_load_dwordx4 v[28:31], v[44:45], off offset:512
	global_load_dwordx4 v[12:15], v[46:47], off offset:1536
	global_load_dwordx4 v[24:27], v[44:45], off offset:3328
	global_load_dwordx4 v[8:11], v[48:49], off offset:256
	global_load_dwordx4 v[0:3], v[48:49], off offset:3072
	global_load_dwordx4 v[20:23], v[50:51], off offset:2048
	global_load_dwordx4 v[16:19], v[52:53], off offset:768
.LBB0_13:
	s_or_b64 exec, exec, s[4:5]
	s_waitcnt vmcnt(1)
	v_add_f64 v[52:53], v[8:9], -v[20:21]
	v_add_f64 v[48:49], v[12:13], -v[24:25]
	;; [unrolled: 1-line block ×4, first 2 shown]
	s_waitcnt vmcnt(0)
	v_add_f64 v[62:63], v[0:1], -v[16:17]
	v_add_f64 v[36:37], v[34:35], -v[38:39]
	;; [unrolled: 1-line block ×4, first 2 shown]
	v_fma_f64 v[50:51], v[8:9], 2.0, -v[52:53]
	v_add_f64 v[8:9], v[6:7], -v[30:31]
	v_fma_f64 v[46:47], v[12:13], 2.0, -v[48:49]
	v_add_f64 v[12:13], v[10:11], -v[22:23]
	v_fma_f64 v[38:39], v[32:33], 2.0, -v[40:41]
	v_fma_f64 v[42:43], v[4:5], 2.0, -v[44:45]
	v_fma_f64 v[60:61], v[0:1], 2.0, -v[62:63]
	v_fma_f64 v[34:35], v[34:35], 2.0, -v[36:37]
	v_fma_f64 v[14:15], v[14:15], 2.0, -v[16:17]
	v_fma_f64 v[6:7], v[6:7], 2.0, -v[8:9]
	v_add_u32_e32 v55, 0x160, v68
	v_fma_f64 v[10:11], v[10:11], 2.0, -v[12:13]
	v_lshl_add_u32 v54, v68, 4, 0
	v_add_u32_e32 v70, 0xb0, v68
	v_lshl_add_u32 v0, v55, 4, 0
	v_fma_f64 v[18:19], v[2:3], 2.0, -v[20:21]
	v_lshl_add_u32 v64, v70, 4, 0
	ds_write_b128 v54, v[38:41]
	ds_write_b128 v64, v[42:45]
	ds_write_b128 v0, v[46:49]
	v_add_u32_e32 v47, 0x2c0, v68
	v_lshlrev_b32_e32 v4, 3, v68
	v_add_u32_e32 v46, 0x210, v68
	v_lshl_add_u32 v48, v47, 4, 0
	v_sub_u32_e32 v69, v54, v4
	v_lshl_add_u32 v1, v46, 4, 0
	ds_write_b128 v48, v[60:63]
	v_add_u32_e32 v63, 0x1400, v69
	ds_write_b128 v1, v[50:53]
	s_load_dwordx2 s[2:3], s[2:3], 0x0
	s_waitcnt lgkmcnt(0)
	s_barrier
	v_add_u32_e32 v5, 0x2000, v69
	v_add_u32_e32 v4, 0xa00, v69
	;; [unrolled: 1-line block ×3, first 2 shown]
	ds_read2_b64 v[38:41], v69 offset1:176
	ds_read2_b64 v[22:25], v63 offset0:64 offset1:240
	ds_read2_b64 v[26:29], v5 offset0:32 offset1:208
	;; [unrolled: 1-line block ×3, first 2 shown]
	ds_read2_b64 v[42:45], v62 offset1:176
	s_waitcnt lgkmcnt(0)
	s_barrier
	ds_write_b128 v54, v[34:37]
	ds_write_b128 v64, v[6:9]
	;; [unrolled: 1-line block ×5, first 2 shown]
	v_and_b32_e32 v11, 1, v68
	v_lshlrev_b32_e32 v0, 4, v11
	s_waitcnt lgkmcnt(0)
	s_barrier
	global_load_dwordx4 v[0:3], v0, s[12:13]
	s_movk_i32 s4, 0x1fc
	v_lshlrev_b32_e32 v6, 1, v68
	s_movk_i32 s5, 0x3fc
	s_movk_i32 s6, 0x7fc
	v_and_or_b32 v12, v6, s4, v11
	v_lshlrev_b32_e32 v9, 1, v70
	v_lshlrev_b32_e32 v8, 1, v55
	;; [unrolled: 1-line block ×4, first 2 shown]
	v_lshl_add_u32 v75, v12, 3, 0
	v_and_or_b32 v12, v9, s5, v11
	v_and_or_b32 v13, v8, s6, v11
	;; [unrolled: 1-line block ×4, first 2 shown]
	v_lshl_add_u32 v76, v12, 3, 0
	v_lshl_add_u32 v77, v13, 3, 0
	;; [unrolled: 1-line block ×4, first 2 shown]
	ds_read2_b64 v[11:14], v5 offset0:32 offset1:208
	ds_read2_b64 v[15:18], v62 offset1:176
	ds_read2_b64 v[34:37], v63 offset0:64 offset1:240
	ds_read2_b64 v[46:49], v69 offset1:176
	ds_read2_b64 v[50:53], v4 offset0:32 offset1:208
	s_waitcnt vmcnt(0) lgkmcnt(0)
	s_barrier
	s_movk_i32 s4, 0x1f8
	s_movk_i32 s5, 0x3f8
	;; [unrolled: 1-line block ×4, first 2 shown]
	v_cmp_gt_u32_e32 vcc, s7, v68
	v_mul_f64 v[19:20], v[36:37], v[2:3]
	v_mul_f64 v[54:55], v[11:12], v[2:3]
	;; [unrolled: 1-line block ×7, first 2 shown]
	v_fma_f64 v[19:20], v[24:25], v[0:1], v[19:20]
	v_fma_f64 v[26:27], v[26:27], v[0:1], v[54:55]
	;; [unrolled: 1-line block ×5, first 2 shown]
	v_mul_f64 v[42:43], v[42:43], v[2:3]
	v_mul_f64 v[44:45], v[44:45], v[2:3]
	;; [unrolled: 1-line block ×3, first 2 shown]
	v_add_f64 v[19:20], v[38:39], -v[19:20]
	v_add_f64 v[24:25], v[40:41], -v[26:27]
	;; [unrolled: 1-line block ×5, first 2 shown]
	v_fma_f64 v[60:61], v[11:12], v[0:1], -v[71:72]
	v_fma_f64 v[64:65], v[13:14], v[0:1], -v[73:74]
	;; [unrolled: 1-line block ×3, first 2 shown]
	v_fma_f64 v[11:12], v[38:39], 2.0, -v[19:20]
	v_fma_f64 v[13:14], v[40:41], 2.0, -v[24:25]
	;; [unrolled: 1-line block ×3, first 2 shown]
	v_fma_f64 v[15:16], v[15:16], v[0:1], -v[42:43]
	v_fma_f64 v[32:33], v[32:33], 2.0, -v[28:29]
	v_fma_f64 v[17:18], v[17:18], v[0:1], -v[44:45]
	v_fma_f64 v[21:22], v[22:23], 2.0, -v[54:55]
	v_add_f64 v[36:37], v[46:47], -v[2:3]
	ds_write2_b64 v75, v[11:12], v[19:20] offset1:2
	ds_write2_b64 v76, v[13:14], v[24:25] offset1:2
	;; [unrolled: 1-line block ×5, first 2 shown]
	v_add_f64 v[27:28], v[48:49], -v[60:61]
	v_add_f64 v[29:30], v[50:51], -v[64:65]
	;; [unrolled: 1-line block ×4, first 2 shown]
	v_fma_f64 v[40:41], v[46:47], 2.0, -v[36:37]
	s_waitcnt lgkmcnt(0)
	s_barrier
	v_fma_f64 v[42:43], v[48:49], 2.0, -v[27:28]
	v_fma_f64 v[44:45], v[50:51], 2.0, -v[29:30]
	;; [unrolled: 1-line block ×4, first 2 shown]
	ds_read2_b64 v[0:3], v69 offset1:176
	ds_read2_b64 v[11:14], v63 offset0:64 offset1:240
	ds_read2_b64 v[15:18], v5 offset0:32 offset1:208
	;; [unrolled: 1-line block ×3, first 2 shown]
	ds_read2_b64 v[23:26], v62 offset1:176
	s_waitcnt lgkmcnt(0)
	s_barrier
	ds_write2_b64 v75, v[40:41], v[36:37] offset1:2
	ds_write2_b64 v76, v[42:43], v[27:28] offset1:2
	;; [unrolled: 1-line block ×5, first 2 shown]
	v_and_b32_e32 v31, 3, v68
	v_lshlrev_b32_e32 v27, 4, v31
	s_waitcnt lgkmcnt(0)
	s_barrier
	global_load_dwordx4 v[27:30], v27, s[12:13] offset:32
	v_and_or_b32 v32, v6, s4, v31
	v_lshl_add_u32 v55, v32, 3, 0
	v_and_or_b32 v32, v9, s5, v31
	v_and_or_b32 v33, v8, s6, v31
	;; [unrolled: 1-line block ×4, first 2 shown]
	v_lshl_add_u32 v79, v32, 3, 0
	v_lshl_add_u32 v80, v33, 3, 0
	;; [unrolled: 1-line block ×4, first 2 shown]
	ds_read2_b64 v[31:34], v5 offset0:32 offset1:208
	ds_read2_b64 v[35:38], v62 offset1:176
	ds_read2_b64 v[39:42], v63 offset0:64 offset1:240
	ds_read2_b64 v[43:46], v69 offset1:176
	ds_read2_b64 v[47:50], v4 offset0:32 offset1:208
	s_waitcnt vmcnt(0) lgkmcnt(0)
	s_barrier
	s_movk_i32 s4, 0x1f0
	s_movk_i32 s5, 0x3f0
	s_movk_i32 s6, 0x7f0
	v_mul_f64 v[51:52], v[31:32], v[29:30]
	v_mul_f64 v[53:54], v[33:34], v[29:30]
	;; [unrolled: 1-line block ×10, first 2 shown]
	v_fma_f64 v[15:16], v[15:16], v[27:28], v[51:52]
	v_fma_f64 v[31:32], v[31:32], v[27:28], -v[60:61]
	v_fma_f64 v[13:14], v[13:14], v[27:28], v[66:67]
	v_fma_f64 v[17:18], v[17:18], v[27:28], v[53:54]
	v_fma_f64 v[33:34], v[33:34], v[27:28], -v[64:65]
	v_fma_f64 v[23:24], v[23:24], v[27:28], v[71:72]
	v_fma_f64 v[35:36], v[35:36], v[27:28], -v[75:76]
	v_fma_f64 v[29:30], v[41:42], v[27:28], -v[29:30]
	v_fma_f64 v[25:26], v[25:26], v[27:28], v[73:74]
	v_fma_f64 v[27:28], v[37:38], v[27:28], -v[77:78]
	v_add_f64 v[13:14], v[0:1], -v[13:14]
	v_add_f64 v[15:16], v[2:3], -v[15:16]
	v_add_f64 v[31:32], v[45:46], -v[31:32]
	v_add_f64 v[17:18], v[19:20], -v[17:18]
	v_add_f64 v[33:34], v[47:48], -v[33:34]
	v_add_f64 v[29:30], v[43:44], -v[29:30]
	v_add_f64 v[23:24], v[21:22], -v[23:24]
	v_add_f64 v[35:36], v[49:50], -v[35:36]
	v_add_f64 v[25:26], v[11:12], -v[25:26]
	v_add_f64 v[27:28], v[39:40], -v[27:28]
	v_fma_f64 v[0:1], v[0:1], 2.0, -v[13:14]
	v_fma_f64 v[2:3], v[2:3], 2.0, -v[15:16]
	;; [unrolled: 1-line block ×10, first 2 shown]
	ds_write2_b64 v55, v[0:1], v[13:14] offset1:4
	ds_write2_b64 v79, v[2:3], v[15:16] offset1:4
	;; [unrolled: 1-line block ×5, first 2 shown]
	s_waitcnt lgkmcnt(0)
	s_barrier
	ds_read2_b64 v[0:3], v69 offset1:176
	ds_read2_b64 v[11:14], v63 offset0:64 offset1:240
	ds_read2_b64 v[15:18], v5 offset0:32 offset1:208
	;; [unrolled: 1-line block ×3, first 2 shown]
	ds_read2_b64 v[23:26], v62 offset1:176
	s_waitcnt lgkmcnt(0)
	s_barrier
	ds_write2_b64 v55, v[37:38], v[29:30] offset1:4
	ds_write2_b64 v79, v[41:42], v[31:32] offset1:4
	;; [unrolled: 1-line block ×5, first 2 shown]
	v_and_b32_e32 v31, 7, v68
	v_lshlrev_b32_e32 v27, 4, v31
	s_waitcnt lgkmcnt(0)
	s_barrier
	global_load_dwordx4 v[27:30], v27, s[12:13] offset:96
	v_and_or_b32 v32, v6, s4, v31
	v_lshl_add_u32 v82, v32, 3, 0
	v_and_or_b32 v32, v9, s5, v31
	v_and_or_b32 v33, v8, s6, v31
	;; [unrolled: 1-line block ×4, first 2 shown]
	v_lshl_add_u32 v83, v32, 3, 0
	v_lshl_add_u32 v84, v33, 3, 0
	;; [unrolled: 1-line block ×4, first 2 shown]
	ds_read2_b64 v[31:34], v5 offset0:32 offset1:208
	ds_read2_b64 v[35:38], v62 offset1:176
	ds_read2_b64 v[39:42], v63 offset0:64 offset1:240
	ds_read2_b64 v[43:46], v69 offset1:176
	ds_read2_b64 v[47:50], v4 offset0:32 offset1:208
	v_and_b32_e32 v55, 15, v68
	v_lshlrev_b32_e32 v81, 4, v55
	s_waitcnt vmcnt(0) lgkmcnt(0)
	s_barrier
	s_movk_i32 s4, 0x1e0
	s_movk_i32 s5, 0x3e0
	s_movk_i32 s6, 0x7e0
	v_and_or_b32 v7, v7, s6, v55
	v_mul_f64 v[51:52], v[31:32], v[29:30]
	v_mul_f64 v[53:54], v[33:34], v[29:30]
	;; [unrolled: 1-line block ×10, first 2 shown]
	v_fma_f64 v[15:16], v[15:16], v[27:28], v[51:52]
	v_fma_f64 v[31:32], v[31:32], v[27:28], -v[60:61]
	v_fma_f64 v[13:14], v[13:14], v[27:28], v[66:67]
	v_fma_f64 v[17:18], v[17:18], v[27:28], v[53:54]
	v_fma_f64 v[33:34], v[33:34], v[27:28], -v[64:65]
	v_fma_f64 v[23:24], v[23:24], v[27:28], v[71:72]
	v_fma_f64 v[35:36], v[35:36], v[27:28], -v[75:76]
	v_fma_f64 v[29:30], v[41:42], v[27:28], -v[29:30]
	v_fma_f64 v[25:26], v[25:26], v[27:28], v[73:74]
	v_fma_f64 v[27:28], v[37:38], v[27:28], -v[77:78]
	v_add_f64 v[13:14], v[0:1], -v[13:14]
	v_add_f64 v[15:16], v[2:3], -v[15:16]
	;; [unrolled: 1-line block ×10, first 2 shown]
	v_fma_f64 v[0:1], v[0:1], 2.0, -v[13:14]
	v_fma_f64 v[2:3], v[2:3], 2.0, -v[15:16]
	;; [unrolled: 1-line block ×10, first 2 shown]
	ds_write2_b64 v82, v[0:1], v[13:14] offset1:8
	ds_write2_b64 v83, v[2:3], v[15:16] offset1:8
	;; [unrolled: 1-line block ×5, first 2 shown]
	s_waitcnt lgkmcnt(0)
	s_barrier
	ds_read2_b64 v[73:76], v69 offset1:176
	ds_read2_b64 v[28:31], v63 offset0:64 offset1:240
	ds_read2_b64 v[24:27], v5 offset0:32 offset1:208
	ds_read2_b64 v[77:80], v4 offset0:32 offset1:208
	ds_read2_b64 v[0:3], v62 offset1:176
	s_waitcnt lgkmcnt(0)
	s_barrier
	ds_write2_b64 v82, v[43:44], v[37:38] offset1:8
	ds_write2_b64 v83, v[45:46], v[41:42] offset1:8
	;; [unrolled: 1-line block ×5, first 2 shown]
	s_waitcnt lgkmcnt(0)
	s_barrier
	global_load_dwordx4 v[32:35], v81, s[12:13] offset:224
	ds_read2_b64 v[40:43], v63 offset0:64 offset1:240
	ds_read2_b64 v[36:39], v5 offset0:32 offset1:208
	ds_read2_b64 v[44:47], v62 offset1:176
	v_and_or_b32 v17, v6, s4, v55
	v_and_or_b32 v19, v9, s5, v55
	;; [unrolled: 1-line block ×3, first 2 shown]
	v_lshl_add_u32 v64, v17, 3, 0
	v_and_or_b32 v23, v10, s6, v55
	v_lshl_add_u32 v66, v19, 3, 0
	v_lshl_add_u32 v71, v7, 3, 0
	ds_read2_b64 v[48:51], v4 offset0:32 offset1:208
	ds_read2_b64 v[52:55], v69 offset1:176
	v_lshl_add_u32 v67, v22, 3, 0
	v_lshl_add_u32 v72, v23, 3, 0
	;; [unrolled: 1-line block ×3, first 2 shown]
	s_waitcnt vmcnt(0) lgkmcnt(0)
	s_barrier
	v_mul_f64 v[5:6], v[42:43], v[34:35]
	v_mul_f64 v[8:9], v[36:37], v[34:35]
	;; [unrolled: 1-line block ×5, first 2 shown]
	v_fma_f64 v[5:6], v[30:31], v[32:33], v[5:6]
	v_fma_f64 v[8:9], v[24:25], v[32:33], v[8:9]
	;; [unrolled: 1-line block ×5, first 2 shown]
	v_add_f64 v[6:7], v[73:74], -v[5:6]
	v_add_f64 v[10:11], v[75:76], -v[8:9]
	;; [unrolled: 1-line block ×5, first 2 shown]
	v_fma_f64 v[4:5], v[73:74], 2.0, -v[6:7]
	v_fma_f64 v[8:9], v[75:76], 2.0, -v[10:11]
	;; [unrolled: 1-line block ×5, first 2 shown]
	ds_write2_b64 v64, v[4:5], v[6:7] offset1:16
	ds_write2_b64 v66, v[8:9], v[10:11] offset1:16
	;; [unrolled: 1-line block ×5, first 2 shown]
	s_waitcnt lgkmcnt(0)
	s_barrier
	s_and_saveexec_b64 s[4:5], vcc
	s_cbranch_execz .LBB0_15
; %bb.14:
	v_add_u32_e32 v8, 0x800, v69
	v_add_u32_e32 v16, 0x1c00, v69
	ds_read2_b64 v[4:7], v69 offset1:160
	ds_read2_b64 v[8:11], v8 offset0:64 offset1:224
	ds_read2_b64 v[12:15], v63 offset1:160
	ds_read2_b64 v[16:19], v16 offset0:64 offset1:224
	ds_read_b64 v[60:61], v65 offset:10240
	ds_read2_b64 v[20:23], v62 offset0:32 offset1:192
.LBB0_15:
	s_or_b64 exec, exec, s[4:5]
	v_mul_f64 v[28:29], v[30:31], v[34:35]
	v_mul_f64 v[24:25], v[24:25], v[34:35]
	;; [unrolled: 1-line block ×5, first 2 shown]
	s_waitcnt lgkmcnt(0)
	s_barrier
	v_fma_f64 v[28:29], v[42:43], v[32:33], -v[28:29]
	v_fma_f64 v[24:25], v[36:37], v[32:33], -v[24:25]
	;; [unrolled: 1-line block ×5, first 2 shown]
	v_add_f64 v[2:3], v[52:53], -v[28:29]
	v_add_f64 v[30:31], v[54:55], -v[24:25]
	;; [unrolled: 1-line block ×5, first 2 shown]
	v_fma_f64 v[0:1], v[52:53], 2.0, -v[2:3]
	v_fma_f64 v[28:29], v[54:55], 2.0, -v[30:31]
	;; [unrolled: 1-line block ×5, first 2 shown]
	ds_write2_b64 v64, v[0:1], v[2:3] offset1:16
	ds_write2_b64 v66, v[28:29], v[30:31] offset1:16
	;; [unrolled: 1-line block ×5, first 2 shown]
	s_waitcnt lgkmcnt(0)
	s_barrier
	s_and_saveexec_b64 s[4:5], vcc
	s_cbranch_execz .LBB0_17
; %bb.16:
	v_add_u32_e32 v24, 0x800, v69
	ds_read2_b64 v[28:31], v24 offset0:64 offset1:224
	v_add_u32_e32 v24, 0x1400, v69
	ds_read2_b64 v[32:35], v24 offset1:160
	v_add_u32_e32 v24, 0x1c00, v69
	ds_read2_b64 v[0:3], v69 offset1:160
	ds_read2_b64 v[36:39], v24 offset0:64 offset1:224
	ds_read_b64 v[50:51], v65 offset:10240
	v_add_u32_e32 v24, 0x2c00, v69
	ds_read2_b64 v[24:27], v24 offset0:32 offset1:192
.LBB0_17:
	s_or_b64 exec, exec, s[4:5]
	v_and_b32_e32 v71, 31, v68
	v_mul_u32_u24_e32 v40, 10, v71
	v_lshlrev_b32_e32 v48, 4, v40
	global_load_dwordx4 v[40:43], v48, s[12:13] offset:480
	global_load_dwordx4 v[44:47], v48, s[12:13] offset:496
	;; [unrolled: 1-line block ×10, first 2 shown]
	s_waitcnt vmcnt(0) lgkmcnt(0)
	s_barrier
	v_mul_f64 v[48:49], v[2:3], v[42:43]
	v_mul_f64 v[42:43], v[6:7], v[42:43]
	;; [unrolled: 1-line block ×19, first 2 shown]
	v_fma_f64 v[64:65], v[2:3], v[40:41], -v[42:43]
	v_mul_f64 v[2:3], v[22:23], v[102:103]
	v_fma_f64 v[62:63], v[6:7], v[40:41], v[48:49]
	v_fma_f64 v[52:53], v[8:9], v[44:45], v[52:53]
	v_fma_f64 v[54:55], v[28:29], v[44:45], -v[46:47]
	v_fma_f64 v[44:45], v[10:11], v[72:73], v[66:67]
	v_fma_f64 v[46:47], v[30:31], v[72:73], -v[74:75]
	;; [unrolled: 2-line block ×9, first 2 shown]
	v_lshrrev_b32_e32 v26, 5, v68
	s_and_saveexec_b64 s[4:5], vcc
	s_cbranch_execz .LBB0_19
; %bb.18:
	v_add_f64 v[2:3], v[64:65], -v[22:23]
	s_mov_b32 s8, 0xfd768dbf
	s_mov_b32 s9, 0xbfd207e7
	v_add_f64 v[10:11], v[54:55], -v[24:25]
	v_add_f64 v[12:13], v[62:63], v[66:67]
	s_mov_b32 s14, 0xf8bb580b
	s_mov_b32 s6, 0x9bcd5057
	s_mov_b32 s15, 0x3fe14ced
	v_mul_f64 v[14:15], v[2:3], s[8:9]
	s_mov_b32 s7, 0xbfeeb42a
	v_add_f64 v[16:17], v[46:47], -v[50:51]
	v_add_f64 v[18:19], v[52:53], v[60:61]
	v_mul_f64 v[20:21], v[10:11], s[14:15]
	s_mov_b32 s18, 0xbb3a28a1
	s_mov_b32 s16, 0x8764f0ba
	s_mov_b32 s19, 0xbfe82f19
	v_fma_f64 v[72:73], v[12:13], s[6:7], -v[14:15]
	s_mov_b32 s17, 0x3feaeb8c
	v_add_f64 v[8:9], v[44:45], v[48:49]
	v_fma_f64 v[14:15], v[12:13], s[6:7], v[14:15]
	v_add_f64 v[74:75], v[42:43], -v[38:39]
	v_mul_f64 v[76:77], v[16:17], s[18:19]
	v_fma_f64 v[78:79], v[18:19], s[16:17], -v[20:21]
	s_mov_b32 s20, 0x7f775887
	v_add_f64 v[72:73], v[4:5], v[72:73]
	s_mov_b32 s25, 0x3fed1bb4
	s_mov_b32 s24, 0x8eee2c13
	;; [unrolled: 1-line block ×3, first 2 shown]
	v_add_f64 v[6:7], v[40:41], v[36:37]
	v_fma_f64 v[20:21], v[18:19], s[16:17], v[20:21]
	v_add_f64 v[14:15], v[4:5], v[14:15]
	v_mul_f64 v[80:81], v[74:75], s[24:25]
	v_fma_f64 v[82:83], v[8:9], s[20:21], -v[76:77]
	v_add_f64 v[72:73], v[78:79], v[72:73]
	v_mul_f64 v[78:79], v[2:3], s[18:19]
	s_mov_b32 s22, 0xd9c712b6
	s_mov_b32 s28, 0x43842ef
	;; [unrolled: 1-line block ×6, first 2 shown]
	v_fma_f64 v[76:77], v[8:9], s[20:21], v[76:77]
	v_fma_f64 v[84:85], v[6:7], s[22:23], -v[80:81]
	v_add_f64 v[14:15], v[20:21], v[14:15]
	v_add_f64 v[20:21], v[82:83], v[72:73]
	v_add_f64 v[72:73], v[32:33], -v[34:35]
	v_fma_f64 v[82:83], v[12:13], s[20:21], -v[78:79]
	v_mul_f64 v[86:87], v[10:11], s[30:31]
	v_fma_f64 v[78:79], v[12:13], s[20:21], v[78:79]
	s_mov_b32 s26, 0x640f44db
	s_mov_b32 s27, 0xbfc2375f
	;; [unrolled: 1-line block ×4, first 2 shown]
	v_fma_f64 v[80:81], v[6:7], s[22:23], v[80:81]
	v_add_f64 v[14:15], v[76:77], v[14:15]
	v_add_f64 v[76:77], v[28:29], v[30:31]
	v_mul_f64 v[88:89], v[72:73], s[28:29]
	v_add_f64 v[82:83], v[4:5], v[82:83]
	v_fma_f64 v[90:91], v[18:19], s[26:27], -v[86:87]
	v_mul_f64 v[92:93], v[16:17], s[34:35]
	v_add_f64 v[20:21], v[84:85], v[20:21]
	v_mul_f64 v[84:85], v[2:3], s[28:29]
	v_fma_f64 v[86:87], v[18:19], s[26:27], v[86:87]
	v_add_f64 v[78:79], v[4:5], v[78:79]
	s_mov_b32 s37, 0x3fd207e7
	s_mov_b32 s36, s8
	v_add_f64 v[14:15], v[80:81], v[14:15]
	v_fma_f64 v[80:81], v[76:77], s[26:27], -v[88:89]
	v_add_f64 v[82:83], v[90:91], v[82:83]
	v_fma_f64 v[90:91], v[8:9], s[16:17], -v[92:93]
	v_mul_f64 v[94:95], v[74:75], s[8:9]
	v_fma_f64 v[96:97], v[12:13], s[26:27], -v[84:85]
	v_mul_f64 v[98:99], v[10:11], s[36:37]
	v_add_f64 v[78:79], v[86:87], v[78:79]
	v_fma_f64 v[86:87], v[8:9], s[16:17], v[92:93]
	v_fma_f64 v[84:85], v[12:13], s[26:27], v[84:85]
	;; [unrolled: 1-line block ×3, first 2 shown]
	v_add_f64 v[82:83], v[90:91], v[82:83]
	v_fma_f64 v[90:91], v[6:7], s[6:7], -v[94:95]
	v_add_f64 v[20:21], v[80:81], v[20:21]
	v_mul_f64 v[80:81], v[72:73], s[24:25]
	v_add_f64 v[96:97], v[4:5], v[96:97]
	v_fma_f64 v[100:101], v[18:19], s[6:7], -v[98:99]
	v_mul_f64 v[102:103], v[16:17], s[24:25]
	v_add_f64 v[78:79], v[86:87], v[78:79]
	v_fma_f64 v[86:87], v[18:19], s[6:7], v[98:99]
	v_add_f64 v[84:85], v[4:5], v[84:85]
	v_add_f64 v[98:99], v[4:5], v[62:63]
	s_mov_b32 s25, 0xbfed1bb4
	v_add_f64 v[14:15], v[88:89], v[14:15]
	v_add_f64 v[82:83], v[90:91], v[82:83]
	v_fma_f64 v[88:89], v[76:77], s[22:23], -v[80:81]
	v_add_f64 v[90:91], v[100:101], v[96:97]
	v_fma_f64 v[92:93], v[8:9], s[22:23], -v[102:103]
	v_mul_f64 v[96:97], v[74:75], s[34:35]
	v_mul_f64 v[100:101], v[2:3], s[24:25]
	v_add_f64 v[84:85], v[86:87], v[84:85]
	v_add_f64 v[86:87], v[98:99], v[52:53]
	v_fma_f64 v[94:95], v[6:7], s[6:7], v[94:95]
	v_add_f64 v[82:83], v[88:89], v[82:83]
	v_mul_f64 v[88:89], v[10:11], s[18:19]
	v_add_f64 v[90:91], v[92:93], v[90:91]
	v_fma_f64 v[92:93], v[6:7], s[16:17], -v[96:97]
	v_fma_f64 v[104:105], v[12:13], s[22:23], -v[100:101]
	v_mul_f64 v[2:3], v[2:3], s[34:35]
	v_add_f64 v[86:87], v[86:87], v[44:45]
	v_add_f64 v[78:79], v[94:95], v[78:79]
	v_fma_f64 v[94:95], v[12:13], s[22:23], v[100:101]
	v_fma_f64 v[100:101], v[18:19], s[20:21], -v[88:89]
	v_fma_f64 v[98:99], v[8:9], s[22:23], v[102:103]
	v_add_f64 v[90:91], v[92:93], v[90:91]
	v_add_f64 v[92:93], v[4:5], v[104:105]
	v_mul_f64 v[102:103], v[16:17], s[36:37]
	v_add_f64 v[86:87], v[86:87], v[40:41]
	v_fma_f64 v[88:89], v[18:19], s[20:21], v[88:89]
	v_add_f64 v[94:95], v[4:5], v[94:95]
	v_mul_f64 v[10:11], v[10:11], s[24:25]
	v_mul_f64 v[16:17], v[16:17], s[28:29]
	v_add_f64 v[84:85], v[98:99], v[84:85]
	v_add_f64 v[92:93], v[100:101], v[92:93]
	v_fma_f64 v[100:101], v[12:13], s[16:17], v[2:3]
	v_fma_f64 v[2:3], v[12:13], s[16:17], -v[2:3]
	v_add_f64 v[86:87], v[86:87], v[28:29]
	v_add_f64 v[12:13], v[88:89], v[94:95]
	v_fma_f64 v[88:89], v[8:9], s[6:7], v[102:103]
	v_fma_f64 v[94:95], v[18:19], s[22:23], v[10:11]
	;; [unrolled: 1-line block ×3, first 2 shown]
	v_fma_f64 v[98:99], v[8:9], s[6:7], -v[102:103]
	v_add_f64 v[100:101], v[4:5], v[100:101]
	v_add_f64 v[2:3], v[4:5], v[2:3]
	v_fma_f64 v[4:5], v[18:19], s[22:23], -v[10:11]
	v_add_f64 v[18:19], v[86:87], v[30:31]
	v_mul_f64 v[104:105], v[74:75], s[30:31]
	v_add_f64 v[12:13], v[88:89], v[12:13]
	v_fma_f64 v[86:87], v[8:9], s[26:27], v[16:17]
	v_mul_f64 v[74:75], v[74:75], s[18:19]
	v_add_f64 v[88:89], v[94:95], v[100:101]
	v_add_f64 v[92:93], v[98:99], v[92:93]
	;; [unrolled: 1-line block ×3, first 2 shown]
	v_fma_f64 v[4:5], v[8:9], s[26:27], -v[16:17]
	v_add_f64 v[16:17], v[18:19], v[36:37]
	v_fma_f64 v[10:11], v[6:7], s[26:27], -v[104:105]
	v_add_f64 v[8:9], v[96:97], v[84:85]
	v_fma_f64 v[84:85], v[6:7], s[20:21], v[74:75]
	v_add_f64 v[18:19], v[86:87], v[88:89]
	v_mul_f64 v[86:87], v[72:73], s[18:19]
	v_fma_f64 v[94:95], v[6:7], s[26:27], v[104:105]
	v_add_f64 v[2:3], v[4:5], v[2:3]
	v_mul_f64 v[4:5], v[72:73], s[8:9]
	v_add_f64 v[16:17], v[16:17], v[48:49]
	v_mul_f64 v[72:73], v[72:73], s[14:15]
	v_fma_f64 v[6:7], v[6:7], s[20:21], -v[74:75]
	v_add_f64 v[10:11], v[10:11], v[92:93]
	v_add_f64 v[18:19], v[84:85], v[18:19]
	v_fma_f64 v[74:75], v[76:77], s[22:23], v[80:81]
	v_fma_f64 v[80:81], v[76:77], s[20:21], -v[86:87]
	v_fma_f64 v[84:85], v[76:77], s[20:21], v[86:87]
	v_fma_f64 v[86:87], v[76:77], s[6:7], v[4:5]
	v_add_f64 v[16:17], v[16:17], v[60:61]
	v_fma_f64 v[88:89], v[76:77], s[16:17], v[72:73]
	v_fma_f64 v[72:73], v[76:77], s[16:17], -v[72:73]
	v_add_f64 v[12:13], v[94:95], v[12:13]
	v_fma_f64 v[4:5], v[76:77], s[6:7], -v[4:5]
	v_add_f64 v[2:3], v[6:7], v[2:3]
	v_add_f64 v[6:7], v[74:75], v[78:79]
	v_add_f64 v[18:19], v[86:87], v[18:19]
	v_add_f64 v[16:17], v[16:17], v[66:67]
	v_add_f64 v[74:75], v[80:81], v[90:91]
	v_add_f64 v[10:11], v[72:73], v[10:11]
	v_add_f64 v[8:9], v[84:85], v[8:9]
	v_add_f64 v[12:13], v[88:89], v[12:13]
	v_add_f64 v[2:3], v[4:5], v[2:3]
	v_mul_u32_u24_e32 v4, 0x160, v26
	v_or_b32_e32 v4, v4, v71
	v_lshl_add_u32 v4, v4, 3, 0
	v_add_u32_e32 v5, 0x800, v4
	ds_write2_b64 v4, v[16:17], v[18:19] offset1:32
	ds_write2_b64 v4, v[12:13], v[8:9] offset0:64 offset1:96
	ds_write2_b64 v4, v[6:7], v[14:15] offset0:128 offset1:160
	ds_write2_b64 v4, v[20:21], v[82:83] offset0:192 offset1:224
	ds_write2_b64 v5, v[74:75], v[10:11] offset1:32
	ds_write_b64 v4, v[2:3] offset:2560
.LBB0_19:
	s_or_b64 exec, exec, s[4:5]
	v_add_u32_e32 v10, 0x1400, v69
	s_waitcnt lgkmcnt(0)
	s_barrier
	ds_read2_b64 v[14:17], v10 offset0:64 offset1:240
	v_add_u32_e32 v10, 0x2000, v69
	v_add_u32_e32 v6, 0xa00, v69
	ds_read2_b64 v[18:21], v10 offset0:32 offset1:208
	v_add_u32_e32 v10, 0x2c00, v69
	ds_read2_b64 v[2:5], v69 offset1:176
	ds_read2_b64 v[6:9], v6 offset0:32 offset1:208
	ds_read2_b64 v[10:13], v10 offset1:176
	s_waitcnt lgkmcnt(0)
	s_barrier
	s_and_saveexec_b64 s[4:5], vcc
	s_cbranch_execz .LBB0_21
; %bb.20:
	v_add_f64 v[72:73], v[0:1], v[64:65]
	v_add_f64 v[62:63], v[62:63], -v[66:67]
	v_add_f64 v[64:65], v[64:65], v[22:23]
	s_mov_b32 s14, 0x8764f0ba
	s_mov_b32 s18, 0xd9c712b6
	s_mov_b32 s15, 0x3feaeb8c
	s_mov_b32 s19, 0x3fda9628
	v_add_f64 v[52:53], v[52:53], -v[60:61]
	v_add_f64 v[66:67], v[72:73], v[54:55]
	v_add_f64 v[54:55], v[54:55], v[24:25]
	v_mul_f64 v[60:61], v[64:65], s[14:15]
	v_mul_f64 v[72:73], v[64:65], s[18:19]
	s_mov_b32 s6, 0xf8bb580b
	s_mov_b32 s16, 0x8eee2c13
	;; [unrolled: 1-line block ×4, first 2 shown]
	v_add_f64 v[66:67], v[66:67], v[46:47]
	s_mov_b32 s38, 0x9bcd5057
	s_mov_b32 s7, 0x3fe14ced
	;; [unrolled: 1-line block ×6, first 2 shown]
	v_mul_f64 v[74:75], v[64:65], s[24:25]
	v_add_f64 v[66:67], v[66:67], v[42:43]
	v_mul_f64 v[76:77], v[64:65], s[34:35]
	v_mul_f64 v[64:65], v[64:65], s[38:39]
	;; [unrolled: 1-line block ×4, first 2 shown]
	v_fma_f64 v[84:85], v[62:63], s[6:7], v[60:61]
	v_fma_f64 v[86:87], v[62:63], s[16:17], v[72:73]
	s_mov_b32 s22, 0x43842ef
	v_add_f64 v[66:67], v[66:67], v[32:33]
	s_mov_b32 s28, 0xbb3a28a1
	s_mov_b32 s36, 0xfd768dbf
	;; [unrolled: 1-line block ×7, first 2 shown]
	v_add_f64 v[66:67], v[66:67], v[34:35]
	s_mov_b32 s31, 0xbfe82f19
	s_mov_b32 s37, 0x3fd207e7
	;; [unrolled: 1-line block ×7, first 2 shown]
	v_add_f64 v[66:67], v[66:67], v[38:39]
	s_mov_b32 s40, s36
	v_mul_f64 v[82:83], v[54:55], s[38:39]
	v_fma_f64 v[60:61], v[62:63], s[8:9], v[60:61]
	v_fma_f64 v[72:73], v[62:63], s[20:21], v[72:73]
	;; [unrolled: 1-line block ×5, first 2 shown]
	v_add_f64 v[66:67], v[66:67], v[50:51]
	v_fma_f64 v[76:77], v[62:63], s[30:31], v[76:77]
	v_fma_f64 v[92:93], v[62:63], s[36:37], v[64:65]
	;; [unrolled: 1-line block ×4, first 2 shown]
	v_add_f64 v[84:85], v[0:1], v[84:85]
	v_fma_f64 v[78:79], v[52:53], s[20:21], v[78:79]
	v_add_f64 v[60:61], v[0:1], v[60:61]
	v_add_f64 v[24:25], v[66:67], v[24:25]
	;; [unrolled: 1-line block ×10, first 2 shown]
	v_fma_f64 v[24:25], v[52:53], s[28:29], v[80:81]
	v_add_f64 v[0:1], v[0:1], v[62:63]
	v_add_f64 v[62:63], v[64:65], v[84:85]
	v_fma_f64 v[64:65], v[52:53], s[30:31], v[80:81]
	v_mul_f64 v[80:81], v[54:55], s[24:25]
	v_add_f64 v[46:47], v[46:47], v[50:51]
	v_mul_f64 v[54:55], v[54:55], s[14:15]
	v_add_f64 v[60:61], v[78:79], v[60:61]
	v_add_f64 v[24:25], v[24:25], v[66:67]
	v_fma_f64 v[66:67], v[52:53], s[36:37], v[82:83]
	v_add_f64 v[44:45], v[44:45], -v[48:49]
	v_add_f64 v[64:65], v[64:65], v[72:73]
	v_fma_f64 v[72:73], v[52:53], s[26:27], v[80:81]
	v_mul_f64 v[48:49], v[46:47], s[24:25]
	v_fma_f64 v[78:79], v[52:53], s[22:23], v[80:81]
	v_fma_f64 v[80:81], v[52:53], s[8:9], v[54:55]
	v_add_f64 v[38:39], v[42:43], v[38:39]
	v_add_f64 v[66:67], v[66:67], v[74:75]
	v_mul_f64 v[74:75], v[46:47], s[38:39]
	v_fma_f64 v[50:51], v[52:53], s[40:41], v[82:83]
	v_fma_f64 v[52:53], v[52:53], s[6:7], v[54:55]
	;; [unrolled: 1-line block ×4, first 2 shown]
	v_add_f64 v[76:77], v[78:79], v[76:77]
	v_add_f64 v[78:79], v[80:81], v[90:91]
	v_mul_f64 v[80:81], v[46:47], s[18:19]
	v_fma_f64 v[82:83], v[44:45], s[40:41], v[74:75]
	v_fma_f64 v[74:75], v[44:45], s[36:37], v[74:75]
	v_mul_f64 v[42:43], v[46:47], s[14:15]
	v_mul_f64 v[46:47], v[46:47], s[34:35]
	v_add_f64 v[36:37], v[40:41], -v[36:37]
	v_mul_f64 v[40:41], v[38:39], s[34:35]
	v_add_f64 v[50:51], v[50:51], v[86:87]
	v_add_f64 v[72:73], v[72:73], v[88:89]
	;; [unrolled: 1-line block ×5, first 2 shown]
	v_fma_f64 v[54:55], v[44:45], s[20:21], v[80:81]
	v_add_f64 v[60:61], v[74:75], v[64:65]
	v_fma_f64 v[62:63], v[44:45], s[16:17], v[80:81]
	v_fma_f64 v[64:65], v[44:45], s[6:7], v[42:43]
	;; [unrolled: 1-line block ×6, first 2 shown]
	v_add_f64 v[50:51], v[54:55], v[50:51]
	v_mul_f64 v[54:55], v[38:39], s[24:25]
	v_fma_f64 v[40:41], v[36:37], s[30:31], v[40:41]
	v_add_f64 v[64:65], v[64:65], v[72:73]
	v_add_f64 v[32:33], v[32:33], v[34:35]
	v_add_f64 v[72:73], v[74:75], v[78:79]
	v_mul_f64 v[74:75], v[38:39], s[14:15]
	v_add_f64 v[0:1], v[44:45], v[0:1]
	v_add_f64 v[44:45], v[46:47], v[52:53]
	v_mul_f64 v[46:47], v[38:39], s[38:39]
	v_add_f64 v[62:63], v[62:63], v[66:67]
	v_fma_f64 v[66:67], v[36:37], s[26:27], v[54:55]
	v_add_f64 v[42:43], v[42:43], v[76:77]
	v_add_f64 v[40:41], v[40:41], v[48:49]
	v_fma_f64 v[34:35], v[36:37], s[22:23], v[54:55]
	v_fma_f64 v[48:49], v[36:37], s[6:7], v[74:75]
	v_mul_f64 v[38:39], v[38:39], s[18:19]
	v_fma_f64 v[52:53], v[36:37], s[8:9], v[74:75]
	v_fma_f64 v[54:55], v[36:37], s[36:37], v[46:47]
	v_fma_f64 v[46:47], v[36:37], s[40:41], v[46:47]
	v_add_f64 v[27:28], v[28:29], -v[30:31]
	v_mul_f64 v[29:30], v[32:33], s[38:39]
	v_add_f64 v[24:25], v[82:83], v[24:25]
	v_add_f64 v[34:35], v[34:35], v[60:61]
	;; [unrolled: 1-line block ×3, first 2 shown]
	v_fma_f64 v[50:51], v[36:37], s[20:21], v[38:39]
	v_add_f64 v[52:53], v[52:53], v[62:63]
	v_fma_f64 v[36:37], v[36:37], s[16:17], v[38:39]
	v_add_f64 v[38:39], v[46:47], v[42:43]
	v_fma_f64 v[42:43], v[27:28], s[36:37], v[29:30]
	v_fma_f64 v[29:30], v[27:28], s[40:41], v[29:30]
	v_mul_f64 v[46:47], v[32:33], s[14:15]
	v_mul_f64 v[60:61], v[32:33], s[34:35]
	;; [unrolled: 1-line block ×4, first 2 shown]
	v_add_f64 v[24:25], v[66:67], v[24:25]
	v_add_f64 v[54:55], v[54:55], v[64:65]
	;; [unrolled: 1-line block ×5, first 2 shown]
	v_fma_f64 v[40:41], v[27:28], s[8:9], v[46:47]
	v_fma_f64 v[42:43], v[27:28], s[6:7], v[46:47]
	;; [unrolled: 1-line block ×8, first 2 shown]
	v_add_f64 v[50:51], v[50:51], v[72:73]
	v_add_f64 v[24:25], v[40:41], v[24:25]
	;; [unrolled: 1-line block ×9, first 2 shown]
	v_mul_u32_u24_e32 v26, 0x160, v26
	v_or_b32_e32 v26, v26, v71
	v_lshl_add_u32 v26, v26, 3, 0
	ds_write2_b64 v26, v[22:23], v[36:37] offset1:32
	ds_write2_b64 v26, v[24:25], v[40:41] offset0:64 offset1:96
	ds_write2_b64 v26, v[42:43], v[44:45] offset0:128 offset1:160
	ds_write2_b64 v26, v[0:1], v[38:39] offset0:192 offset1:224
	v_add_u32_e32 v0, 0x800, v26
	ds_write2_b64 v0, v[27:28], v[33:34] offset1:32
	ds_write_b64 v26, v[29:30] offset:2560
.LBB0_21:
	s_or_b64 exec, exec, s[4:5]
	s_waitcnt lgkmcnt(0)
	s_barrier
	s_and_saveexec_b64 s[4:5], s[0:1]
	s_cbranch_execz .LBB0_23
; %bb.22:
	v_lshlrev_b32_e32 v0, 2, v70
	v_mov_b32_e32 v1, 0
	v_lshlrev_b64 v[22:23], 4, v[0:1]
	v_mov_b32_e32 v32, s13
	v_add_co_u32_e32 v0, vcc, s12, v22
	v_addc_co_u32_e32 v50, vcc, v32, v23, vcc
	s_movk_i32 s4, 0x15e0
	v_add_co_u32_e32 v54, vcc, s4, v0
	v_addc_co_u32_e32 v55, vcc, 0, v50, vcc
	s_movk_i32 s13, 0x1000
	v_add_co_u32_e32 v60, vcc, s13, v0
	v_lshlrev_b32_e32 v0, 2, v68
	v_lshlrev_b64 v[30:31], 4, v[0:1]
	v_addc_co_u32_e32 v61, vcc, 0, v50, vcc
	v_add_co_u32_e64 v0, s[0:1], s12, v30
	v_addc_co_u32_e64 v30, s[0:1], v32, v31, s[0:1]
	v_add_co_u32_e64 v46, s[0:1], s4, v0
	v_addc_co_u32_e64 v47, s[0:1], 0, v30, s[0:1]
	;; [unrolled: 2-line block ×3, first 2 shown]
	global_load_dwordx4 v[22:25], v[54:55], off offset:32
	global_load_dwordx4 v[26:29], v[54:55], off offset:16
	global_load_dwordx4 v[30:33], v[46:47], off offset:32
	global_load_dwordx4 v[34:37], v[46:47], off offset:16
	global_load_dwordx4 v[38:41], v[48:49], off offset:1504
	global_load_dwordx4 v[42:45], v[46:47], off offset:48
	s_nop 0
	global_load_dwordx4 v[46:49], v[60:61], off offset:1504
	global_load_dwordx4 v[50:53], v[54:55], off offset:48
	v_add_u32_e32 v62, 0x1400, v69
	v_add_u32_e32 v73, 0x2000, v69
	;; [unrolled: 1-line block ×3, first 2 shown]
	v_mul_lo_u32 v0, s3, v58
	v_mul_lo_u32 v66, s2, v59
	v_mad_u64_u32 v[54:55], s[0:1], s2, v58, 0
	v_add_u32_e32 v67, 0xa00, v69
	ds_read2_b64 v[58:61], v69 offset1:176
	ds_read2_b64 v[62:65], v62 offset0:64 offset1:240
	ds_read2_b64 v[69:72], v67 offset0:32 offset1:208
	;; [unrolled: 1-line block ×3, first 2 shown]
	ds_read2_b64 v[77:80], v77 offset1:176
	v_add3_u32 v55, v55, v66, v0
	s_mov_b32 s6, 0x134454ff
	s_mov_b32 s7, 0x3fee6f0e
	;; [unrolled: 1-line block ×10, first 2 shown]
	s_movk_i32 s12, 0x2000
	s_waitcnt vmcnt(5)
	v_mul_f64 v[87:88], v[18:19], v[32:33]
	v_mul_f64 v[81:82], v[20:21], v[24:25]
	;; [unrolled: 1-line block ×3, first 2 shown]
	s_waitcnt lgkmcnt(3)
	v_mul_f64 v[28:29], v[64:65], v[28:29]
	s_waitcnt lgkmcnt(1)
	v_mul_f64 v[24:25], v[75:76], v[24:25]
	s_waitcnt vmcnt(1)
	v_mul_f64 v[91:92], v[8:9], v[48:49]
	s_waitcnt vmcnt(0)
	v_mul_f64 v[93:94], v[12:13], v[52:53]
	v_mul_f64 v[48:49], v[71:72], v[48:49]
	s_waitcnt lgkmcnt(0)
	v_mul_f64 v[52:53], v[79:80], v[52:53]
	v_mul_f64 v[85:86], v[6:7], v[40:41]
	v_fma_f64 v[64:65], v[64:65], v[26:27], -v[66:67]
	v_fma_f64 v[28:29], v[16:17], v[26:27], v[28:29]
	v_fma_f64 v[66:67], v[20:21], v[22:23], v[24:25]
	v_fma_f64 v[16:17], v[75:76], v[22:23], -v[81:82]
	v_fma_f64 v[20:21], v[71:72], v[46:47], -v[91:92]
	;; [unrolled: 1-line block ×3, first 2 shown]
	v_fma_f64 v[46:47], v[8:9], v[46:47], v[48:49]
	v_fma_f64 v[48:49], v[12:13], v[50:51], v[52:53]
	v_mul_f64 v[24:25], v[73:74], v[32:33]
	v_fma_f64 v[32:33], v[69:70], v[38:39], -v[85:86]
	v_add_f64 v[26:27], v[28:29], v[66:67]
	v_add_f64 v[12:13], v[64:65], v[16:17]
	v_add_f64 v[8:9], v[28:29], -v[66:67]
	v_add_f64 v[75:76], v[20:21], v[22:23]
	v_add_f64 v[52:53], v[64:65], -v[20:21]
	v_add_f64 v[71:72], v[16:17], -v[22:23]
	;; [unrolled: 1-line block ×5, first 2 shown]
	v_add_f64 v[91:92], v[20:21], v[60:61]
	v_add_f64 v[97:98], v[46:47], v[48:49]
	v_fma_f64 v[12:13], v[12:13], -0.5, v[60:61]
	v_fma_f64 v[103:104], v[26:27], -0.5, v[4:5]
	;; [unrolled: 1-line block ×3, first 2 shown]
	v_add_f64 v[50:51], v[64:65], -v[16:17]
	v_add_f64 v[93:94], v[28:29], -v[46:47]
	;; [unrolled: 1-line block ×6, first 2 shown]
	v_add_f64 v[52:53], v[52:53], v[71:72]
	v_fma_f64 v[60:61], v[97:98], -0.5, v[4:5]
	v_add_f64 v[71:72], v[81:82], v[85:86]
	v_add_f64 v[64:65], v[64:65], v[91:92]
	v_fma_f64 v[81:82], v[79:80], s[8:9], v[12:13]
	v_fma_f64 v[85:86], v[8:9], s[6:7], v[26:27]
	;; [unrolled: 1-line block ×3, first 2 shown]
	v_mul_f64 v[89:90], v[10:11], v[44:45]
	v_add_f64 v[75:76], v[93:94], v[95:96]
	v_fma_f64 v[12:13], v[79:80], s[6:7], v[12:13]
	v_fma_f64 v[91:92], v[50:51], s[8:9], v[60:61]
	v_add_f64 v[93:94], v[20:21], v[101:102]
	v_add_f64 v[16:17], v[16:17], v[64:65]
	v_fma_f64 v[20:21], v[50:51], s[6:7], v[60:61]
	v_fma_f64 v[60:61], v[8:9], s[2:3], v[81:82]
	v_fma_f64 v[81:82], v[79:80], s[2:3], v[85:86]
	v_fma_f64 v[26:27], v[79:80], s[4:5], v[26:27]
	v_mul_f64 v[83:84], v[14:15], v[36:37]
	v_mul_f64 v[36:37], v[62:63], v[36:37]
	v_fma_f64 v[64:65], v[8:9], s[4:5], v[12:13]
	v_add_f64 v[8:9], v[22:23], v[16:17]
	v_mul_f64 v[40:41], v[69:70], v[40:41]
	v_fma_f64 v[12:13], v[71:72], s[0:1], v[60:61]
	v_fma_f64 v[22:23], v[52:53], s[0:1], v[81:82]
	v_fma_f64 v[26:27], v[52:53], s[0:1], v[26:27]
	v_fma_f64 v[52:53], v[77:78], v[42:43], -v[89:90]
	v_fma_f64 v[60:61], v[62:63], v[34:35], -v[83:84]
	v_mul_f64 v[44:45], v[77:78], v[44:45]
	v_fma_f64 v[62:63], v[73:74], v[30:31], -v[87:88]
	v_fma_f64 v[36:37], v[14:15], v[34:35], v[36:37]
	v_fma_f64 v[18:19], v[18:19], v[30:31], v[24:25]
	v_fma_f64 v[38:39], v[6:7], v[38:39], v[40:41]
	v_add_f64 v[4:5], v[4:5], v[46:47]
	v_add_f64 v[14:15], v[32:33], v[52:53]
	v_fma_f64 v[85:86], v[99:100], s[6:7], v[103:104]
	v_fma_f64 v[40:41], v[10:11], v[42:43], v[44:45]
	v_add_f64 v[6:7], v[60:61], v[62:63]
	v_fma_f64 v[30:31], v[99:100], s[8:9], v[103:104]
	v_add_f64 v[42:43], v[36:37], -v[18:19]
	v_fma_f64 v[16:17], v[71:72], s[0:1], v[64:65]
	v_add_f64 v[4:5], v[28:29], v[4:5]
	v_fma_f64 v[14:15], v[14:15], -0.5, v[58:59]
	v_add_f64 v[28:29], v[62:63], -v[52:53]
	v_add_f64 v[34:35], v[38:39], -v[40:41]
	v_fma_f64 v[44:45], v[6:7], -0.5, v[58:59]
	v_add_f64 v[6:7], v[60:61], -v[32:33]
	v_fma_f64 v[64:65], v[50:51], s[4:5], v[85:86]
	v_fma_f64 v[30:31], v[50:51], s[2:3], v[30:31]
	v_add_f64 v[4:5], v[4:5], v[66:67]
	v_fma_f64 v[46:47], v[42:43], s[6:7], v[14:15]
	v_fma_f64 v[50:51], v[42:43], s[8:9], v[14:15]
	v_add_f64 v[66:67], v[38:39], v[40:41]
	v_add_f64 v[69:70], v[52:53], -v[62:63]
	v_add_f64 v[28:29], v[6:7], v[28:29]
	v_fma_f64 v[10:11], v[93:94], s[0:1], v[64:65]
	v_fma_f64 v[14:15], v[93:94], s[0:1], v[30:31]
	v_add_f64 v[30:31], v[32:33], v[58:59]
	v_fma_f64 v[46:47], v[34:35], s[2:3], v[46:47]
	v_fma_f64 v[50:51], v[34:35], s[4:5], v[50:51]
	v_add_f64 v[6:7], v[4:5], v[48:49]
	v_add_f64 v[64:65], v[32:33], -v[60:61]
	v_fma_f64 v[71:72], v[34:35], s[8:9], v[44:45]
	v_fma_f64 v[44:45], v[34:35], s[6:7], v[44:45]
	v_add_f64 v[32:33], v[32:33], -v[52:53]
	v_add_f64 v[48:49], v[60:61], v[30:31]
	v_fma_f64 v[4:5], v[28:29], s[0:1], v[46:47]
	v_add_f64 v[46:47], v[36:37], v[18:19]
	v_fma_f64 v[30:31], v[28:29], s[0:1], v[50:51]
	v_fma_f64 v[28:29], v[66:67], -0.5, v[2:3]
	v_add_f64 v[58:59], v[64:65], v[69:70]
	v_fma_f64 v[64:65], v[42:43], s[2:3], v[71:72]
	v_add_f64 v[50:51], v[60:61], -v[62:63]
	v_fma_f64 v[42:43], v[42:43], s[4:5], v[44:45]
	v_add_f64 v[44:45], v[62:63], v[48:49]
	v_fma_f64 v[46:47], v[46:47], -0.5, v[2:3]
	v_add_f64 v[2:3], v[2:3], v[38:39]
	v_add_f64 v[48:49], v[36:37], -v[38:39]
	v_add_f64 v[60:61], v[18:19], -v[40:41]
	v_fma_f64 v[34:35], v[58:59], s[0:1], v[64:65]
	v_fma_f64 v[62:63], v[50:51], s[8:9], v[28:29]
	v_fma_f64 v[28:29], v[50:51], s[6:7], v[28:29]
	v_add_f64 v[64:65], v[38:39], -v[36:37]
	v_add_f64 v[66:67], v[40:41], -v[18:19]
	v_add_f64 v[2:3], v[36:37], v[2:3]
	v_fma_f64 v[69:70], v[32:33], s[6:7], v[46:47]
	v_fma_f64 v[46:47], v[32:33], s[8:9], v[46:47]
	v_add_f64 v[36:37], v[48:49], v[60:61]
	v_fma_f64 v[48:49], v[32:33], s[4:5], v[62:63]
	v_fma_f64 v[28:29], v[32:33], s[2:3], v[28:29]
	;; [unrolled: 1-line block ×3, first 2 shown]
	v_add_f64 v[58:59], v[64:65], v[66:67]
	v_add_f64 v[18:19], v[2:3], v[18:19]
	v_fma_f64 v[79:80], v[99:100], s[4:5], v[91:92]
	v_fma_f64 v[46:47], v[50:51], s[2:3], v[46:47]
	v_fma_f64 v[91:92], v[99:100], s[2:3], v[20:21]
	s_mov_b32 s2, 0xba2e8ba3
	v_mul_hi_u32 v0, v68, s2
	v_add_f64 v[42:43], v[52:53], v[44:45]
	v_mov_b32_e32 v44, s11
	v_add_f64 v[40:41], v[18:19], v[40:41]
	v_lshlrev_b64 v[18:19], 4, v[54:55]
	v_fma_f64 v[32:33], v[50:51], s[4:5], v[69:70]
	v_add_co_u32_e32 v45, vcc, s10, v18
	v_fma_f64 v[2:3], v[36:37], s[0:1], v[48:49]
	v_fma_f64 v[28:29], v[36:37], s[0:1], v[28:29]
	;; [unrolled: 1-line block ×3, first 2 shown]
	v_lshrrev_b32_e32 v0, 8, v0
	v_addc_co_u32_e32 v44, vcc, v44, v19, vcc
	v_lshlrev_b64 v[18:19], 4, v[56:57]
	v_mul_u32_u24_e32 v0, 0x160, v0
	v_sub_u32_e32 v0, v68, v0
	v_add_co_u32_e32 v45, vcc, v45, v18
	v_addc_co_u32_e32 v44, vcc, v44, v19, vcc
	v_lshlrev_b32_e32 v0, 4, v0
	v_add_co_u32_e32 v18, vcc, v45, v0
	v_addc_co_u32_e32 v19, vcc, 0, v44, vcc
	global_store_dwordx4 v[18:19], v[40:43], off
	v_fma_f64 v[32:33], v[58:59], s[0:1], v[32:33]
	v_add_co_u32_e32 v40, vcc, s13, v18
	v_addc_co_u32_e32 v41, vcc, 0, v19, vcc
	global_store_dwordx4 v[40:41], v[36:39], off offset:1536
	v_fma_f64 v[20:21], v[75:76], s[0:1], v[79:80]
	v_add_co_u32_e32 v36, vcc, s12, v18
	v_fma_f64 v[24:25], v[75:76], s[0:1], v[91:92]
	v_addc_co_u32_e32 v37, vcc, 0, v19, vcc
	s_movk_i32 s0, 0x4000
	global_store_dwordx4 v[36:37], v[28:31], off offset:3072
	v_add_u32_e32 v0, 0xb0, v68
	v_add_co_u32_e32 v28, vcc, s0, v18
	v_addc_co_u32_e32 v29, vcc, 0, v19, vcc
	global_store_dwordx4 v[28:29], v[2:5], off offset:512
	s_movk_i32 s0, 0x5000
	v_mul_hi_u32 v4, v0, s2
	v_add_co_u32_e32 v2, vcc, s0, v18
	v_addc_co_u32_e32 v3, vcc, 0, v19, vcc
	global_store_dwordx4 v[2:3], v[32:35], off offset:2048
	v_lshrrev_b32_e32 v2, 8, v4
	v_mul_u32_u24_e32 v3, 0x160, v2
	v_sub_u32_e32 v0, v0, v3
	s_movk_i32 s0, 0x6e0
	v_mad_u32_u24 v0, v2, s0, v0
	v_lshlrev_b64 v[2:3], 4, v[0:1]
	v_add_co_u32_e32 v2, vcc, v45, v2
	v_addc_co_u32_e32 v3, vcc, v44, v3, vcc
	global_store_dwordx4 v[2:3], v[6:9], off
	v_add_u32_e32 v2, 0x160, v0
	v_mov_b32_e32 v3, v1
	v_lshlrev_b64 v[2:3], 4, v[2:3]
	v_add_co_u32_e32 v2, vcc, v45, v2
	v_addc_co_u32_e32 v3, vcc, v44, v3, vcc
	global_store_dwordx4 v[2:3], v[14:17], off
	v_add_u32_e32 v2, 0x2c0, v0
	v_mov_b32_e32 v3, v1
	;; [unrolled: 6-line block ×3, first 2 shown]
	v_lshlrev_b64 v[2:3], 4, v[2:3]
	v_add_u32_e32 v0, 0x580, v0
	v_add_co_u32_e32 v2, vcc, v45, v2
	v_lshlrev_b64 v[0:1], 4, v[0:1]
	v_addc_co_u32_e32 v3, vcc, v44, v3, vcc
	v_add_co_u32_e32 v0, vcc, v45, v0
	v_addc_co_u32_e32 v1, vcc, v44, v1, vcc
	global_store_dwordx4 v[2:3], v[20:23], off
	global_store_dwordx4 v[0:1], v[10:13], off
.LBB0_23:
	s_endpgm
	.section	.rodata,"a",@progbits
	.p2align	6, 0x0
	.amdhsa_kernel fft_rtc_back_len1760_factors_2_2_2_2_2_11_5_wgs_176_tpt_176_halfLds_dp_op_CI_CI_unitstride_sbrr_dirReg
		.amdhsa_group_segment_fixed_size 0
		.amdhsa_private_segment_fixed_size 0
		.amdhsa_kernarg_size 104
		.amdhsa_user_sgpr_count 6
		.amdhsa_user_sgpr_private_segment_buffer 1
		.amdhsa_user_sgpr_dispatch_ptr 0
		.amdhsa_user_sgpr_queue_ptr 0
		.amdhsa_user_sgpr_kernarg_segment_ptr 1
		.amdhsa_user_sgpr_dispatch_id 0
		.amdhsa_user_sgpr_flat_scratch_init 0
		.amdhsa_user_sgpr_private_segment_size 0
		.amdhsa_uses_dynamic_stack 0
		.amdhsa_system_sgpr_private_segment_wavefront_offset 0
		.amdhsa_system_sgpr_workgroup_id_x 1
		.amdhsa_system_sgpr_workgroup_id_y 0
		.amdhsa_system_sgpr_workgroup_id_z 0
		.amdhsa_system_sgpr_workgroup_info 0
		.amdhsa_system_vgpr_workitem_id 0
		.amdhsa_next_free_vgpr 118
		.amdhsa_next_free_sgpr 42
		.amdhsa_reserve_vcc 1
		.amdhsa_reserve_flat_scratch 0
		.amdhsa_float_round_mode_32 0
		.amdhsa_float_round_mode_16_64 0
		.amdhsa_float_denorm_mode_32 3
		.amdhsa_float_denorm_mode_16_64 3
		.amdhsa_dx10_clamp 1
		.amdhsa_ieee_mode 1
		.amdhsa_fp16_overflow 0
		.amdhsa_exception_fp_ieee_invalid_op 0
		.amdhsa_exception_fp_denorm_src 0
		.amdhsa_exception_fp_ieee_div_zero 0
		.amdhsa_exception_fp_ieee_overflow 0
		.amdhsa_exception_fp_ieee_underflow 0
		.amdhsa_exception_fp_ieee_inexact 0
		.amdhsa_exception_int_div_zero 0
	.end_amdhsa_kernel
	.text
.Lfunc_end0:
	.size	fft_rtc_back_len1760_factors_2_2_2_2_2_11_5_wgs_176_tpt_176_halfLds_dp_op_CI_CI_unitstride_sbrr_dirReg, .Lfunc_end0-fft_rtc_back_len1760_factors_2_2_2_2_2_11_5_wgs_176_tpt_176_halfLds_dp_op_CI_CI_unitstride_sbrr_dirReg
                                        ; -- End function
	.section	.AMDGPU.csdata,"",@progbits
; Kernel info:
; codeLenInByte = 9884
; NumSgprs: 46
; NumVgprs: 118
; ScratchSize: 0
; MemoryBound: 1
; FloatMode: 240
; IeeeMode: 1
; LDSByteSize: 0 bytes/workgroup (compile time only)
; SGPRBlocks: 5
; VGPRBlocks: 29
; NumSGPRsForWavesPerEU: 46
; NumVGPRsForWavesPerEU: 118
; Occupancy: 2
; WaveLimiterHint : 1
; COMPUTE_PGM_RSRC2:SCRATCH_EN: 0
; COMPUTE_PGM_RSRC2:USER_SGPR: 6
; COMPUTE_PGM_RSRC2:TRAP_HANDLER: 0
; COMPUTE_PGM_RSRC2:TGID_X_EN: 1
; COMPUTE_PGM_RSRC2:TGID_Y_EN: 0
; COMPUTE_PGM_RSRC2:TGID_Z_EN: 0
; COMPUTE_PGM_RSRC2:TIDIG_COMP_CNT: 0
	.type	__hip_cuid_20da60044b3da9d0,@object ; @__hip_cuid_20da60044b3da9d0
	.section	.bss,"aw",@nobits
	.globl	__hip_cuid_20da60044b3da9d0
__hip_cuid_20da60044b3da9d0:
	.byte	0                               ; 0x0
	.size	__hip_cuid_20da60044b3da9d0, 1

	.ident	"AMD clang version 19.0.0git (https://github.com/RadeonOpenCompute/llvm-project roc-6.4.0 25133 c7fe45cf4b819c5991fe208aaa96edf142730f1d)"
	.section	".note.GNU-stack","",@progbits
	.addrsig
	.addrsig_sym __hip_cuid_20da60044b3da9d0
	.amdgpu_metadata
---
amdhsa.kernels:
  - .args:
      - .actual_access:  read_only
        .address_space:  global
        .offset:         0
        .size:           8
        .value_kind:     global_buffer
      - .offset:         8
        .size:           8
        .value_kind:     by_value
      - .actual_access:  read_only
        .address_space:  global
        .offset:         16
        .size:           8
        .value_kind:     global_buffer
      - .actual_access:  read_only
        .address_space:  global
        .offset:         24
        .size:           8
        .value_kind:     global_buffer
      - .actual_access:  read_only
        .address_space:  global
        .offset:         32
        .size:           8
        .value_kind:     global_buffer
      - .offset:         40
        .size:           8
        .value_kind:     by_value
      - .actual_access:  read_only
        .address_space:  global
        .offset:         48
        .size:           8
        .value_kind:     global_buffer
      - .actual_access:  read_only
        .address_space:  global
        .offset:         56
        .size:           8
        .value_kind:     global_buffer
      - .offset:         64
        .size:           4
        .value_kind:     by_value
      - .actual_access:  read_only
        .address_space:  global
        .offset:         72
        .size:           8
        .value_kind:     global_buffer
      - .actual_access:  read_only
        .address_space:  global
        .offset:         80
        .size:           8
        .value_kind:     global_buffer
      - .actual_access:  read_only
        .address_space:  global
        .offset:         88
        .size:           8
        .value_kind:     global_buffer
      - .actual_access:  write_only
        .address_space:  global
        .offset:         96
        .size:           8
        .value_kind:     global_buffer
    .group_segment_fixed_size: 0
    .kernarg_segment_align: 8
    .kernarg_segment_size: 104
    .language:       OpenCL C
    .language_version:
      - 2
      - 0
    .max_flat_workgroup_size: 176
    .name:           fft_rtc_back_len1760_factors_2_2_2_2_2_11_5_wgs_176_tpt_176_halfLds_dp_op_CI_CI_unitstride_sbrr_dirReg
    .private_segment_fixed_size: 0
    .sgpr_count:     46
    .sgpr_spill_count: 0
    .symbol:         fft_rtc_back_len1760_factors_2_2_2_2_2_11_5_wgs_176_tpt_176_halfLds_dp_op_CI_CI_unitstride_sbrr_dirReg.kd
    .uniform_work_group_size: 1
    .uses_dynamic_stack: false
    .vgpr_count:     118
    .vgpr_spill_count: 0
    .wavefront_size: 64
amdhsa.target:   amdgcn-amd-amdhsa--gfx906
amdhsa.version:
  - 1
  - 2
...

	.end_amdgpu_metadata
